;; amdgpu-corpus repo=ROCm/rocFFT kind=compiled arch=gfx1030 opt=O3
	.text
	.amdgcn_target "amdgcn-amd-amdhsa--gfx1030"
	.amdhsa_code_object_version 6
	.protected	fft_rtc_back_len1715_factors_5_7_7_7_wgs_245_tpt_245_halfLds_dp_ip_CI_sbrr_dirReg ; -- Begin function fft_rtc_back_len1715_factors_5_7_7_7_wgs_245_tpt_245_halfLds_dp_ip_CI_sbrr_dirReg
	.globl	fft_rtc_back_len1715_factors_5_7_7_7_wgs_245_tpt_245_halfLds_dp_ip_CI_sbrr_dirReg
	.p2align	8
	.type	fft_rtc_back_len1715_factors_5_7_7_7_wgs_245_tpt_245_halfLds_dp_ip_CI_sbrr_dirReg,@function
fft_rtc_back_len1715_factors_5_7_7_7_wgs_245_tpt_245_halfLds_dp_ip_CI_sbrr_dirReg: ; @fft_rtc_back_len1715_factors_5_7_7_7_wgs_245_tpt_245_halfLds_dp_ip_CI_sbrr_dirReg
; %bb.0:
	s_clause 0x2
	s_load_dwordx2 s[14:15], s[4:5], 0x18
	s_load_dwordx4 s[8:11], s[4:5], 0x0
	s_load_dwordx2 s[12:13], s[4:5], 0x50
	v_mul_u32_u24_e32 v1, 0x10c, v0
	v_mov_b32_e32 v3, 0
	v_add_nc_u32_sdwa v5, s6, v1 dst_sel:DWORD dst_unused:UNUSED_PAD src0_sel:DWORD src1_sel:WORD_1
	v_mov_b32_e32 v1, 0
	v_mov_b32_e32 v6, v3
	v_mov_b32_e32 v2, 0
	s_waitcnt lgkmcnt(0)
	s_load_dwordx2 s[2:3], s[14:15], 0x0
	v_cmp_lt_u64_e64 s0, s[10:11], 2
	s_and_b32 vcc_lo, exec_lo, s0
	s_cbranch_vccnz .LBB0_8
; %bb.1:
	s_load_dwordx2 s[0:1], s[4:5], 0x10
	v_mov_b32_e32 v1, 0
	s_add_u32 s6, s14, 8
	v_mov_b32_e32 v2, 0
	s_addc_u32 s7, s15, 0
	s_mov_b64 s[18:19], 1
	s_waitcnt lgkmcnt(0)
	s_add_u32 s16, s0, 8
	s_addc_u32 s17, s1, 0
.LBB0_2:                                ; =>This Inner Loop Header: Depth=1
	s_load_dwordx2 s[20:21], s[16:17], 0x0
                                        ; implicit-def: $vgpr7_vgpr8
	s_mov_b32 s0, exec_lo
	s_waitcnt lgkmcnt(0)
	v_or_b32_e32 v4, s21, v6
	v_cmpx_ne_u64_e32 0, v[3:4]
	s_xor_b32 s1, exec_lo, s0
	s_cbranch_execz .LBB0_4
; %bb.3:                                ;   in Loop: Header=BB0_2 Depth=1
	v_cvt_f32_u32_e32 v4, s20
	v_cvt_f32_u32_e32 v7, s21
	s_sub_u32 s0, 0, s20
	s_subb_u32 s22, 0, s21
	v_fmac_f32_e32 v4, 0x4f800000, v7
	v_rcp_f32_e32 v4, v4
	v_mul_f32_e32 v4, 0x5f7ffffc, v4
	v_mul_f32_e32 v7, 0x2f800000, v4
	v_trunc_f32_e32 v7, v7
	v_fmac_f32_e32 v4, 0xcf800000, v7
	v_cvt_u32_f32_e32 v7, v7
	v_cvt_u32_f32_e32 v4, v4
	v_mul_lo_u32 v8, s0, v7
	v_mul_hi_u32 v9, s0, v4
	v_mul_lo_u32 v10, s22, v4
	v_add_nc_u32_e32 v8, v9, v8
	v_mul_lo_u32 v9, s0, v4
	v_add_nc_u32_e32 v8, v8, v10
	v_mul_hi_u32 v10, v4, v9
	v_mul_lo_u32 v11, v4, v8
	v_mul_hi_u32 v12, v4, v8
	v_mul_hi_u32 v13, v7, v9
	v_mul_lo_u32 v9, v7, v9
	v_mul_hi_u32 v14, v7, v8
	v_mul_lo_u32 v8, v7, v8
	v_add_co_u32 v10, vcc_lo, v10, v11
	v_add_co_ci_u32_e32 v11, vcc_lo, 0, v12, vcc_lo
	v_add_co_u32 v9, vcc_lo, v10, v9
	v_add_co_ci_u32_e32 v9, vcc_lo, v11, v13, vcc_lo
	v_add_co_ci_u32_e32 v10, vcc_lo, 0, v14, vcc_lo
	v_add_co_u32 v8, vcc_lo, v9, v8
	v_add_co_ci_u32_e32 v9, vcc_lo, 0, v10, vcc_lo
	v_add_co_u32 v4, vcc_lo, v4, v8
	v_add_co_ci_u32_e32 v7, vcc_lo, v7, v9, vcc_lo
	v_mul_hi_u32 v8, s0, v4
	v_mul_lo_u32 v10, s22, v4
	v_mul_lo_u32 v9, s0, v7
	v_add_nc_u32_e32 v8, v8, v9
	v_mul_lo_u32 v9, s0, v4
	v_add_nc_u32_e32 v8, v8, v10
	v_mul_hi_u32 v10, v4, v9
	v_mul_lo_u32 v11, v4, v8
	v_mul_hi_u32 v12, v4, v8
	v_mul_hi_u32 v13, v7, v9
	v_mul_lo_u32 v9, v7, v9
	v_mul_hi_u32 v14, v7, v8
	v_mul_lo_u32 v8, v7, v8
	v_add_co_u32 v10, vcc_lo, v10, v11
	v_add_co_ci_u32_e32 v11, vcc_lo, 0, v12, vcc_lo
	v_add_co_u32 v9, vcc_lo, v10, v9
	v_add_co_ci_u32_e32 v9, vcc_lo, v11, v13, vcc_lo
	v_add_co_ci_u32_e32 v10, vcc_lo, 0, v14, vcc_lo
	v_add_co_u32 v8, vcc_lo, v9, v8
	v_add_co_ci_u32_e32 v9, vcc_lo, 0, v10, vcc_lo
	v_add_co_u32 v4, vcc_lo, v4, v8
	v_add_co_ci_u32_e32 v11, vcc_lo, v7, v9, vcc_lo
	v_mul_hi_u32 v13, v5, v4
	v_mad_u64_u32 v[9:10], null, v6, v4, 0
	v_mad_u64_u32 v[7:8], null, v5, v11, 0
	;; [unrolled: 1-line block ×3, first 2 shown]
	v_add_co_u32 v4, vcc_lo, v13, v7
	v_add_co_ci_u32_e32 v7, vcc_lo, 0, v8, vcc_lo
	v_add_co_u32 v4, vcc_lo, v4, v9
	v_add_co_ci_u32_e32 v4, vcc_lo, v7, v10, vcc_lo
	v_add_co_ci_u32_e32 v7, vcc_lo, 0, v12, vcc_lo
	v_add_co_u32 v4, vcc_lo, v4, v11
	v_add_co_ci_u32_e32 v9, vcc_lo, 0, v7, vcc_lo
	v_mul_lo_u32 v10, s21, v4
	v_mad_u64_u32 v[7:8], null, s20, v4, 0
	v_mul_lo_u32 v11, s20, v9
	v_sub_co_u32 v7, vcc_lo, v5, v7
	v_add3_u32 v8, v8, v11, v10
	v_sub_nc_u32_e32 v10, v6, v8
	v_subrev_co_ci_u32_e64 v10, s0, s21, v10, vcc_lo
	v_add_co_u32 v11, s0, v4, 2
	v_add_co_ci_u32_e64 v12, s0, 0, v9, s0
	v_sub_co_u32 v13, s0, v7, s20
	v_sub_co_ci_u32_e32 v8, vcc_lo, v6, v8, vcc_lo
	v_subrev_co_ci_u32_e64 v10, s0, 0, v10, s0
	v_cmp_le_u32_e32 vcc_lo, s20, v13
	v_cmp_eq_u32_e64 s0, s21, v8
	v_cndmask_b32_e64 v13, 0, -1, vcc_lo
	v_cmp_le_u32_e32 vcc_lo, s21, v10
	v_cndmask_b32_e64 v14, 0, -1, vcc_lo
	v_cmp_le_u32_e32 vcc_lo, s20, v7
	;; [unrolled: 2-line block ×3, first 2 shown]
	v_cndmask_b32_e64 v15, 0, -1, vcc_lo
	v_cmp_eq_u32_e32 vcc_lo, s21, v10
	v_cndmask_b32_e64 v7, v15, v7, s0
	v_cndmask_b32_e32 v10, v14, v13, vcc_lo
	v_add_co_u32 v13, vcc_lo, v4, 1
	v_add_co_ci_u32_e32 v14, vcc_lo, 0, v9, vcc_lo
	v_cmp_ne_u32_e32 vcc_lo, 0, v10
	v_cndmask_b32_e32 v8, v14, v12, vcc_lo
	v_cndmask_b32_e32 v10, v13, v11, vcc_lo
	v_cmp_ne_u32_e32 vcc_lo, 0, v7
	v_cndmask_b32_e32 v8, v9, v8, vcc_lo
	v_cndmask_b32_e32 v7, v4, v10, vcc_lo
.LBB0_4:                                ;   in Loop: Header=BB0_2 Depth=1
	s_andn2_saveexec_b32 s0, s1
	s_cbranch_execz .LBB0_6
; %bb.5:                                ;   in Loop: Header=BB0_2 Depth=1
	v_cvt_f32_u32_e32 v4, s20
	s_sub_i32 s1, 0, s20
	v_rcp_iflag_f32_e32 v4, v4
	v_mul_f32_e32 v4, 0x4f7ffffe, v4
	v_cvt_u32_f32_e32 v4, v4
	v_mul_lo_u32 v7, s1, v4
	v_mul_hi_u32 v7, v4, v7
	v_add_nc_u32_e32 v4, v4, v7
	v_mul_hi_u32 v4, v5, v4
	v_mul_lo_u32 v7, v4, s20
	v_add_nc_u32_e32 v8, 1, v4
	v_sub_nc_u32_e32 v7, v5, v7
	v_subrev_nc_u32_e32 v9, s20, v7
	v_cmp_le_u32_e32 vcc_lo, s20, v7
	v_cndmask_b32_e32 v7, v7, v9, vcc_lo
	v_cndmask_b32_e32 v4, v4, v8, vcc_lo
	v_cmp_le_u32_e32 vcc_lo, s20, v7
	v_add_nc_u32_e32 v8, 1, v4
	v_cndmask_b32_e32 v7, v4, v8, vcc_lo
	v_mov_b32_e32 v8, v3
.LBB0_6:                                ;   in Loop: Header=BB0_2 Depth=1
	s_or_b32 exec_lo, exec_lo, s0
	s_load_dwordx2 s[0:1], s[6:7], 0x0
	v_mul_lo_u32 v4, v8, s20
	v_mul_lo_u32 v11, v7, s21
	v_mad_u64_u32 v[9:10], null, v7, s20, 0
	s_add_u32 s18, s18, 1
	s_addc_u32 s19, s19, 0
	s_add_u32 s6, s6, 8
	s_addc_u32 s7, s7, 0
	;; [unrolled: 2-line block ×3, first 2 shown]
	v_add3_u32 v4, v10, v11, v4
	v_sub_co_u32 v5, vcc_lo, v5, v9
	v_sub_co_ci_u32_e32 v4, vcc_lo, v6, v4, vcc_lo
	s_waitcnt lgkmcnt(0)
	v_mul_lo_u32 v6, s1, v5
	v_mul_lo_u32 v4, s0, v4
	v_mad_u64_u32 v[1:2], null, s0, v5, v[1:2]
	v_cmp_ge_u64_e64 s0, s[18:19], s[10:11]
	s_and_b32 vcc_lo, exec_lo, s0
	v_add3_u32 v2, v6, v2, v4
	s_cbranch_vccnz .LBB0_9
; %bb.7:                                ;   in Loop: Header=BB0_2 Depth=1
	v_mov_b32_e32 v5, v7
	v_mov_b32_e32 v6, v8
	s_branch .LBB0_2
.LBB0_8:
	v_mov_b32_e32 v8, v6
	v_mov_b32_e32 v7, v5
.LBB0_9:
	s_lshl_b64 s[0:1], s[10:11], 3
	v_mul_hi_u32 v3, 0x10b7e6f, v0
	s_add_u32 s0, s14, s0
	s_addc_u32 s1, s15, s1
	v_mov_b32_e32 v42, 0
	s_load_dwordx2 s[0:1], s[0:1], 0x0
	s_load_dwordx2 s[4:5], s[4:5], 0x20
                                        ; implicit-def: $vgpr10_vgpr11
                                        ; implicit-def: $vgpr18_vgpr19
                                        ; implicit-def: $vgpr30_vgpr31
                                        ; implicit-def: $vgpr34_vgpr35
                                        ; implicit-def: $vgpr38_vgpr39
                                        ; implicit-def: $vgpr14_vgpr15
                                        ; implicit-def: $vgpr22_vgpr23
                                        ; implicit-def: $vgpr26_vgpr27
	v_mul_u32_u24_e32 v3, 0xf5, v3
	v_sub_nc_u32_e32 v43, v0, v3
	s_waitcnt lgkmcnt(0)
	v_mul_lo_u32 v4, s0, v8
	v_mul_lo_u32 v5, s1, v7
	v_mad_u64_u32 v[1:2], null, s0, v7, v[1:2]
	v_cmp_gt_u64_e32 vcc_lo, s[4:5], v[7:8]
                                        ; implicit-def: $vgpr6_vgpr7
	v_add3_u32 v2, v5, v2, v4
	v_lshlrev_b64 v[40:41], 4, v[1:2]
                                        ; implicit-def: $vgpr2_vgpr3
	s_and_saveexec_b32 s1, vcc_lo
	s_cbranch_execz .LBB0_13
; %bb.10:
	v_add_nc_u32_e32 v9, 0x157, v43
	v_add_nc_u32_e32 v11, 0x2ae, v43
	v_mad_u64_u32 v[0:1], null, s2, v43, 0
	v_add_nc_u32_e32 v15, 0x405, v43
	v_mad_u64_u32 v[2:3], null, s2, v9, 0
	v_mad_u64_u32 v[4:5], null, s2, v11, 0
	v_add_nc_u32_e32 v16, 0x55c, v43
	s_mov_b32 s4, exec_lo
                                        ; implicit-def: $vgpr36_vgpr37
                                        ; implicit-def: $vgpr32_vgpr33
                                        ; implicit-def: $vgpr28_vgpr29
	v_mad_u64_u32 v[6:7], null, s3, v43, v[1:2]
	v_mov_b32_e32 v1, v3
	v_mov_b32_e32 v3, v5
	v_mad_u64_u32 v[7:8], null, s2, v15, 0
	v_mad_u64_u32 v[9:10], null, s3, v9, v[1:2]
	;; [unrolled: 1-line block ×4, first 2 shown]
	v_mov_b32_e32 v1, v6
	v_mov_b32_e32 v6, v8
	;; [unrolled: 1-line block ×3, first 2 shown]
	v_add_co_u32 v10, s0, s12, v40
	v_lshlrev_b64 v[0:1], 4, v[0:1]
	v_mad_u64_u32 v[8:9], null, s3, v15, v[6:7]
	v_mov_b32_e32 v6, v14
	v_mov_b32_e32 v5, v12
	v_add_co_ci_u32_e64 v11, s0, s13, v41, s0
	v_lshlrev_b64 v[2:3], 4, v[2:3]
	v_mad_u64_u32 v[14:15], null, s3, v16, v[6:7]
	v_add_co_u32 v0, s0, v10, v0
	v_lshlrev_b64 v[4:5], 4, v[4:5]
	v_add_co_ci_u32_e64 v1, s0, v11, v1, s0
	v_add_co_u32 v2, s0, v10, v2
	v_lshlrev_b64 v[6:7], 4, v[7:8]
	v_add_co_ci_u32_e64 v3, s0, v11, v3, s0
	;; [unrolled: 3-line block ×3, first 2 shown]
	v_add_co_u32 v6, s0, v10, v6
	v_add_co_ci_u32_e64 v7, s0, v11, v7, s0
	v_add_co_u32 v8, s0, v10, v8
	v_add_co_ci_u32_e64 v9, s0, v11, v9, s0
	s_clause 0x4
	global_load_dwordx4 v[24:27], v[0:1], off
	global_load_dwordx4 v[20:23], v[2:3], off
	;; [unrolled: 1-line block ×5, first 2 shown]
                                        ; implicit-def: $vgpr16_vgpr17
                                        ; implicit-def: $vgpr8_vgpr9
	v_cmpx_gt_u32_e32 0x62, v43
	s_cbranch_execz .LBB0_12
; %bb.11:
	v_add_nc_u32_e32 v30, 0xf5, v43
	v_add_nc_u32_e32 v35, 0x3a3, v43
	;; [unrolled: 1-line block ×5, first 2 shown]
	v_mad_u64_u32 v[8:9], null, s2, v30, 0
	v_mad_u64_u32 v[18:19], null, s2, v35, 0
	;; [unrolled: 1-line block ×6, first 2 shown]
	v_mov_b32_e32 v9, v19
	v_mad_u64_u32 v[33:34], null, s3, v33, v[17:18]
	v_mov_b32_e32 v19, v29
	v_mad_u64_u32 v[34:35], null, s3, v35, v[9:10]
	v_mov_b32_e32 v29, v32
	v_mov_b32_e32 v9, v30
	;; [unrolled: 1-line block ×3, first 2 shown]
	s_waitcnt vmcnt(3)
	v_mad_u64_u32 v[32:33], null, s3, v36, v[19:20]
	v_mov_b32_e32 v19, v34
	v_mad_u64_u32 v[33:34], null, s3, v37, v[29:30]
	v_lshlrev_b64 v[8:9], 4, v[8:9]
	v_lshlrev_b64 v[16:17], 4, v[16:17]
	v_mov_b32_e32 v29, v32
	v_lshlrev_b64 v[18:19], 4, v[18:19]
	v_add_co_u32 v8, s0, v10, v8
	v_mov_b32_e32 v32, v33
	v_add_co_ci_u32_e64 v9, s0, v11, v9, s0
	v_add_co_u32 v16, s0, v10, v16
	v_lshlrev_b64 v[28:29], 4, v[28:29]
	v_add_co_ci_u32_e64 v17, s0, v11, v17, s0
	v_add_co_u32 v18, s0, v10, v18
	v_lshlrev_b64 v[30:31], 4, v[31:32]
	v_add_co_ci_u32_e64 v19, s0, v11, v19, s0
	v_add_co_u32 v44, s0, v10, v28
	v_add_co_ci_u32_e64 v45, s0, v11, v29, s0
	v_add_co_u32 v10, s0, v10, v30
	v_add_co_ci_u32_e64 v11, s0, v11, v31, s0
	s_clause 0x4
	global_load_dwordx4 v[36:39], v[8:9], off
	global_load_dwordx4 v[32:35], v[16:17], off
	;; [unrolled: 1-line block ×5, first 2 shown]
.LBB0_12:
	s_or_b32 exec_lo, exec_lo, s4
	v_mov_b32_e32 v42, v43
.LBB0_13:
	s_or_b32 exec_lo, exec_lo, s1
	s_waitcnt vmcnt(1)
	v_add_f64 v[44:45], v[4:5], v[12:13]
	s_waitcnt vmcnt(0)
	v_add_f64 v[46:47], v[0:1], v[20:21]
	v_add_f64 v[48:49], v[20:21], v[24:25]
	v_add_f64 v[50:51], v[22:23], -v[2:3]
	v_add_f64 v[52:53], v[14:15], -v[6:7]
	s_mov_b32 s4, 0x134454ff
	s_mov_b32 s5, 0xbfee6f0e
	;; [unrolled: 1-line block ×4, first 2 shown]
	v_add_f64 v[54:55], v[0:1], -v[4:5]
	v_add_f64 v[56:57], v[12:13], -v[20:21]
	;; [unrolled: 1-line block ×3, first 2 shown]
	s_mov_b32 s14, 0x4755a5e
	s_mov_b32 s15, 0xbfe2cf23
	;; [unrolled: 1-line block ×6, first 2 shown]
	v_cmp_gt_u32_e64 s0, 0x62, v43
	v_fma_f64 v[44:45], v[44:45], -0.5, v[24:25]
	v_fma_f64 v[24:25], v[46:47], -0.5, v[24:25]
	v_add_f64 v[46:47], v[20:21], -v[12:13]
	v_add_f64 v[48:49], v[12:13], v[48:49]
	v_fma_f64 v[60:61], v[50:51], s[4:5], v[44:45]
	v_fma_f64 v[62:63], v[52:53], s[10:11], v[24:25]
	;; [unrolled: 1-line block ×4, first 2 shown]
	v_add_f64 v[46:47], v[54:55], v[46:47]
	v_add_f64 v[54:55], v[58:59], v[56:57]
	;; [unrolled: 1-line block ×3, first 2 shown]
	v_fma_f64 v[56:57], v[52:53], s[14:15], v[60:61]
	v_fma_f64 v[58:59], v[50:51], s[14:15], v[62:63]
	;; [unrolled: 1-line block ×4, first 2 shown]
	v_add_f64 v[48:49], v[0:1], v[48:49]
	v_fma_f64 v[50:51], v[46:47], s[6:7], v[56:57]
	v_fma_f64 v[52:53], v[54:55], s[6:7], v[58:59]
	;; [unrolled: 1-line block ×4, first 2 shown]
	v_mad_u32_u24 v24, v43, 40, 0
	ds_write2_b64 v24, v[48:49], v[50:51] offset1:1
	ds_write2_b64 v24, v[52:53], v[54:55] offset0:2 offset1:3
	ds_write_b64 v24, v[45:46] offset:32
	v_add_nc_u32_e32 v44, 0x2648, v24
	v_add_nc_u32_e32 v25, 0x2658, v24
	s_and_saveexec_b32 s1, s0
	s_cbranch_execz .LBB0_15
; %bb.14:
	v_add_f64 v[45:46], v[8:9], v[32:33]
	v_add_f64 v[47:48], v[16:17], v[28:29]
	v_add_f64 v[49:50], v[34:35], -v[10:11]
	v_add_f64 v[53:54], v[32:33], v[36:37]
	v_add_f64 v[51:52], v[30:31], -v[18:19]
	v_add_f64 v[55:56], v[16:17], -v[8:9]
	;; [unrolled: 1-line block ×4, first 2 shown]
	v_fma_f64 v[45:46], v[45:46], -0.5, v[36:37]
	v_fma_f64 v[36:37], v[47:48], -0.5, v[36:37]
	v_add_f64 v[47:48], v[28:29], -v[32:33]
	v_add_f64 v[53:54], v[28:29], v[53:54]
	v_fma_f64 v[61:62], v[51:52], s[4:5], v[45:46]
	v_fma_f64 v[63:64], v[49:50], s[4:5], v[36:37]
	;; [unrolled: 1-line block ×4, first 2 shown]
	v_add_f64 v[47:48], v[55:56], v[47:48]
	v_add_f64 v[55:56], v[59:60], v[57:58]
	;; [unrolled: 1-line block ×3, first 2 shown]
	v_fma_f64 v[57:58], v[49:50], s[16:17], v[61:62]
	v_fma_f64 v[59:60], v[51:52], s[14:15], v[63:64]
	;; [unrolled: 1-line block ×4, first 2 shown]
	v_add_f64 v[49:50], v[8:9], v[53:54]
	v_fma_f64 v[51:52], v[47:48], s[6:7], v[57:58]
	v_fma_f64 v[53:54], v[55:56], s[6:7], v[59:60]
	;; [unrolled: 1-line block ×4, first 2 shown]
	ds_write2_b64 v44, v[49:50], v[53:54] offset1:1
	ds_write2_b64 v25, v[45:46], v[51:52] offset1:1
	ds_write_b64 v24, v[36:37] offset:9832
.LBB0_15:
	s_or_b32 exec_lo, exec_lo, s1
	v_add_f64 v[36:37], v[6:7], v[14:15]
	v_add_f64 v[45:46], v[2:3], v[22:23]
	;; [unrolled: 1-line block ×3, first 2 shown]
	v_add_f64 v[0:1], v[20:21], -v[0:1]
	v_add_f64 v[4:5], v[12:13], -v[4:5]
	v_lshlrev_b32_e32 v51, 5, v43
	s_waitcnt lgkmcnt(0)
	s_barrier
	buffer_gl0_inv
	v_fma_f64 v[12:13], v[36:37], -0.5, v[26:27]
	v_fma_f64 v[20:21], v[45:46], -0.5, v[26:27]
	v_add_f64 v[26:27], v[22:23], -v[14:15]
	v_add_f64 v[36:37], v[2:3], -v[6:7]
	;; [unrolled: 1-line block ×3, first 2 shown]
	v_add_f64 v[14:15], v[14:15], v[47:48]
	v_add_f64 v[45:46], v[6:7], -v[2:3]
	v_fma_f64 v[47:48], v[0:1], s[10:11], v[12:13]
	v_fma_f64 v[49:50], v[4:5], s[4:5], v[20:21]
	;; [unrolled: 1-line block ×4, first 2 shown]
	v_add_f64 v[26:27], v[36:37], v[26:27]
	v_add_f64 v[14:15], v[6:7], v[14:15]
	;; [unrolled: 1-line block ×3, first 2 shown]
	v_fma_f64 v[36:37], v[4:5], s[16:17], v[47:48]
	v_fma_f64 v[45:46], v[0:1], s[16:17], v[49:50]
	;; [unrolled: 1-line block ×4, first 2 shown]
	v_sub_nc_u32_e32 v20, v24, v51
	v_add_f64 v[47:48], v[2:3], v[14:15]
	v_add_nc_u32_e32 v52, 0xf00, v20
	v_add_nc_u32_e32 v53, 0x1e80, v20
	ds_read2_b64 v[4:7], v20 offset1:245
	v_fma_f64 v[36:37], v[26:27], s[6:7], v[36:37]
	v_fma_f64 v[45:46], v[22:23], s[6:7], v[45:46]
	;; [unrolled: 1-line block ×4, first 2 shown]
	ds_read_b64 v[20:21], v20 offset:11760
	ds_read2_b64 v[12:15], v52 offset0:10 offset1:255
	ds_read2_b64 v[0:3], v53 offset0:4 offset1:249
	v_sub_nc_u32_e32 v22, 0, v51
	s_waitcnt lgkmcnt(0)
	s_barrier
	buffer_gl0_inv
	ds_write2_b64 v24, v[47:48], v[36:37] offset1:1
	ds_write2_b64 v24, v[45:46], v[49:50] offset0:2 offset1:3
	ds_write_b64 v24, v[26:27] offset:32
	s_and_saveexec_b32 s1, s0
	s_cbranch_execz .LBB0_17
; %bb.16:
	v_add_f64 v[26:27], v[18:19], v[30:31]
	v_add_f64 v[36:37], v[10:11], v[34:35]
	;; [unrolled: 1-line block ×3, first 2 shown]
	v_add_f64 v[8:9], v[32:33], -v[8:9]
	v_add_f64 v[16:17], v[28:29], -v[16:17]
	s_mov_b32 s4, 0x134454ff
	s_mov_b32 s5, 0x3fee6f0e
	;; [unrolled: 1-line block ×4, first 2 shown]
	v_add_f64 v[32:33], v[34:35], -v[30:31]
	v_add_f64 v[34:35], v[30:31], -v[34:35]
	v_fma_f64 v[26:27], v[26:27], -0.5, v[38:39]
	v_fma_f64 v[28:29], v[36:37], -0.5, v[38:39]
	v_add_f64 v[36:37], v[10:11], -v[18:19]
	v_add_f64 v[30:31], v[30:31], v[45:46]
	v_add_f64 v[38:39], v[18:19], -v[10:11]
	v_fma_f64 v[45:46], v[8:9], s[4:5], v[26:27]
	v_fma_f64 v[47:48], v[16:17], s[6:7], v[28:29]
	;; [unrolled: 1-line block ×4, first 2 shown]
	s_mov_b32 s4, 0x4755a5e
	s_mov_b32 s5, 0x3fe2cf23
	;; [unrolled: 1-line block ×4, first 2 shown]
	v_add_f64 v[32:33], v[36:37], v[32:33]
	v_add_f64 v[18:19], v[18:19], v[30:31]
	;; [unrolled: 1-line block ×3, first 2 shown]
	v_fma_f64 v[30:31], v[16:17], s[4:5], v[45:46]
	v_fma_f64 v[36:37], v[8:9], s[4:5], v[47:48]
	;; [unrolled: 1-line block ×4, first 2 shown]
	s_mov_b32 s4, 0x372fe950
	s_mov_b32 s5, 0x3fd3c6ef
	v_add_f64 v[10:11], v[10:11], v[18:19]
	v_fma_f64 v[18:19], v[32:33], s[4:5], v[30:31]
	v_fma_f64 v[26:27], v[34:35], s[4:5], v[36:37]
	;; [unrolled: 1-line block ×4, first 2 shown]
	ds_write2_b64 v44, v[10:11], v[18:19] offset1:1
	ds_write2_b64 v25, v[26:27], v[8:9] offset1:1
	ds_write_b64 v24, v[16:17] offset:9832
.LBB0_17:
	s_or_b32 exec_lo, exec_lo, s1
	v_and_b32_e32 v72, 0xff, v43
	v_mov_b32_e32 v74, 6
	s_waitcnt lgkmcnt(0)
	s_barrier
	buffer_gl0_inv
	v_mul_lo_u16 v8, 0xcd, v72
	v_add_nc_u32_e32 v16, v24, v22
	s_mov_b32 s6, 0x37e14327
	s_mov_b32 s0, 0x36b3c0b5
	;; [unrolled: 1-line block ×3, first 2 shown]
	v_lshrrev_b16 v73, 10, v8
	v_add_nc_u32_e32 v9, 0x1e80, v16
	s_mov_b32 s4, 0x429ad128
	s_mov_b32 s7, 0x3fe948f6
	;; [unrolled: 1-line block ×3, first 2 shown]
	v_mul_lo_u16 v8, v73, 5
	s_mov_b32 s15, 0x3fe11646
	s_mov_b32 s5, 0xbfebfeb5
	;; [unrolled: 1-line block ×4, first 2 shown]
	v_sub_nc_u16 v75, v43, v8
	s_mov_b32 s20, 0xb247c609
	s_mov_b32 s11, 0xbff2aaaa
	;; [unrolled: 1-line block ×4, first 2 shown]
	v_mul_u32_u24_sdwa v8, v75, v74 dst_sel:DWORD dst_unused:UNUSED_PAD src0_sel:BYTE_0 src1_sel:DWORD
	s_mov_b32 s21, 0xbfd5d0dc
	s_mov_b32 s23, 0x3fd5d0dc
	;; [unrolled: 1-line block ×4, first 2 shown]
	v_lshlrev_b32_e32 v8, 4, v8
	s_mov_b32 s24, 0x37c3f68c
	s_mov_b32 s25, 0xbfdc38aa
	s_clause 0x5
	global_load_dwordx4 v[25:28], v8, s[8:9]
	global_load_dwordx4 v[29:32], v8, s[8:9] offset:16
	global_load_dwordx4 v[33:36], v8, s[8:9] offset:80
	global_load_dwordx4 v[44:47], v8, s[8:9] offset:64
	global_load_dwordx4 v[48:51], v8, s[8:9] offset:32
	global_load_dwordx4 v[52:55], v8, s[8:9] offset:48
	v_add_nc_u32_e32 v8, 0xf00, v16
	ds_read2_b64 v[56:59], v16 offset1:245
	ds_read2_b64 v[60:63], v8 offset0:10 offset1:255
	ds_read_b64 v[10:11], v16 offset:11760
	ds_read2_b64 v[64:67], v9 offset0:4 offset1:249
	s_waitcnt vmcnt(0) lgkmcnt(0)
	s_barrier
	buffer_gl0_inv
	v_mul_f64 v[17:18], v[58:59], v[27:28]
	v_mul_f64 v[22:23], v[6:7], v[27:28]
	;; [unrolled: 1-line block ×8, first 2 shown]
	v_fma_f64 v[6:7], v[6:7], v[25:26], v[17:18]
	v_fma_f64 v[17:18], v[58:59], v[25:26], -v[22:23]
	v_mul_f64 v[22:23], v[20:21], v[35:36]
	v_mul_f64 v[24:25], v[2:3], v[46:47]
	v_fma_f64 v[12:13], v[12:13], v[29:30], v[27:28]
	v_fma_f64 v[26:27], v[60:61], v[29:30], -v[31:32]
	v_mul_f64 v[28:29], v[64:65], v[54:55]
	v_mul_f64 v[30:31], v[0:1], v[54:55]
	v_fma_f64 v[19:20], v[20:21], v[33:34], v[37:38]
	v_fma_f64 v[2:3], v[2:3], v[44:45], v[68:69]
	;; [unrolled: 1-line block ×3, first 2 shown]
	v_mov_b32_e32 v70, 3
	v_fma_f64 v[10:11], v[10:11], v[33:34], -v[22:23]
	v_fma_f64 v[21:22], v[66:67], v[44:45], -v[24:25]
	;; [unrolled: 1-line block ×3, first 2 shown]
	v_fma_f64 v[0:1], v[0:1], v[52:53], v[28:29]
	v_fma_f64 v[28:29], v[64:65], v[52:53], -v[30:31]
	v_add_f64 v[30:31], v[6:7], v[19:20]
	v_add_f64 v[32:33], v[12:13], v[2:3]
	v_add_f64 v[2:3], v[12:13], -v[2:3]
	v_add_f64 v[6:7], v[6:7], -v[19:20]
	v_add_f64 v[34:35], v[17:18], v[10:11]
	v_add_f64 v[36:37], v[26:27], v[21:22]
	v_add_f64 v[21:22], v[26:27], -v[21:22]
	v_add_f64 v[10:11], v[17:18], -v[10:11]
	v_add_f64 v[25:26], v[14:15], v[0:1]
	v_add_f64 v[38:39], v[28:29], -v[23:24]
	v_add_f64 v[23:24], v[23:24], v[28:29]
	v_add_f64 v[17:18], v[32:33], v[30:31]
	v_add_f64 v[0:1], v[0:1], -v[14:15]
	v_add_f64 v[50:51], v[2:3], -v[6:7]
	v_add_f64 v[12:13], v[36:37], v[34:35]
	v_add_f64 v[27:28], v[21:22], -v[10:11]
	v_add_f64 v[14:15], v[30:31], -v[25:26]
	;; [unrolled: 1-line block ×4, first 2 shown]
	v_add_f64 v[17:18], v[25:26], v[17:18]
	v_add_f64 v[25:26], v[25:26], -v[32:33]
	v_add_f64 v[48:49], v[0:1], -v[2:3]
	;; [unrolled: 1-line block ×3, first 2 shown]
	v_add_f64 v[21:22], v[38:39], v[21:22]
	v_add_f64 v[29:30], v[32:33], -v[30:31]
	v_add_f64 v[33:34], v[36:37], -v[34:35]
	v_add_f64 v[2:3], v[0:1], v[2:3]
	v_add_f64 v[0:1], v[6:7], -v[0:1]
	v_mul_f64 v[52:53], v[50:51], s[4:5]
	v_add_f64 v[12:13], v[23:24], v[12:13]
	v_add_f64 v[23:24], v[10:11], -v[38:39]
	v_mul_f64 v[38:39], v[27:28], s[4:5]
	v_mul_f64 v[14:15], v[14:15], s[6:7]
	;; [unrolled: 1-line block ×4, first 2 shown]
	v_add_f64 v[4:5], v[4:5], v[17:18]
	v_mul_f64 v[31:32], v[25:26], s[0:1]
	v_mul_f64 v[48:49], v[48:49], s[14:15]
	;; [unrolled: 1-line block ×3, first 2 shown]
	v_add_f64 v[10:11], v[21:22], v[10:11]
	v_add_f64 v[2:3], v[2:3], v[6:7]
	;; [unrolled: 1-line block ×3, first 2 shown]
	v_fma_f64 v[21:22], v[25:26], s[0:1], v[14:15]
	v_fma_f64 v[25:26], v[23:24], s[20:21], v[19:20]
	v_fma_f64 v[19:20], v[27:28], s[4:5], -v[19:20]
	v_fma_f64 v[23:24], v[23:24], s[22:23], -v[38:39]
	v_fma_f64 v[17:18], v[17:18], s[10:11], v[4:5]
	v_fma_f64 v[14:15], v[29:30], s[18:19], -v[14:15]
	v_fma_f64 v[27:28], v[29:30], s[16:17], -v[31:32]
	v_fma_f64 v[6:7], v[46:47], s[0:1], v[35:36]
	v_fma_f64 v[31:32], v[0:1], s[20:21], v[48:49]
	v_fma_f64 v[37:38], v[50:51], s[4:5], -v[48:49]
	v_fma_f64 v[0:1], v[0:1], s[22:23], -v[52:53]
	;; [unrolled: 1-line block ×4, first 2 shown]
	v_mov_b32_e32 v35, 0x118
	v_fma_f64 v[12:13], v[12:13], s[10:11], v[54:55]
	v_fma_f64 v[25:26], v[10:11], s[24:25], v[25:26]
	;; [unrolled: 1-line block ×4, first 2 shown]
	v_add_f64 v[21:22], v[21:22], v[17:18]
	v_add_f64 v[14:15], v[14:15], v[17:18]
	v_add_f64 v[17:18], v[27:28], v[17:18]
	v_mul_lo_u16 v23, 0xeb, v72
	v_fma_f64 v[27:28], v[2:3], s[24:25], v[37:38]
	v_fma_f64 v[0:1], v[2:3], s[24:25], v[0:1]
	v_lshrrev_b16 v39, 13, v23
	v_fma_f64 v[23:24], v[2:3], s[24:25], v[31:32]
	v_mul_lo_u16 v36, v39, 35
	v_add_f64 v[2:3], v[6:7], v[12:13]
	v_add_f64 v[6:7], v[33:34], v[12:13]
	;; [unrolled: 1-line block ×3, first 2 shown]
	v_sub_nc_u16 v71, v43, v36
	v_add_f64 v[29:30], v[25:26], v[21:22]
	v_add_f64 v[31:32], v[10:11], v[14:15]
	v_add_f64 v[33:34], v[17:18], -v[19:20]
	v_add_f64 v[17:18], v[19:20], v[17:18]
	v_mul_u32_u24_sdwa v19, v73, v35 dst_sel:DWORD dst_unused:UNUSED_PAD src0_sel:WORD_0 src1_sel:DWORD
	v_lshlrev_b32_sdwa v20, v70, v75 dst_sel:DWORD dst_unused:UNUSED_PAD src0_sel:DWORD src1_sel:BYTE_0
	v_add_f64 v[10:11], v[14:15], -v[10:11]
	v_add_f64 v[14:15], v[21:22], -v[25:26]
	v_mul_u32_u24_sdwa v37, v71, v74 dst_sel:DWORD dst_unused:UNUSED_PAD src0_sel:BYTE_0 src1_sel:DWORD
	v_add3_u32 v38, 0, v19, v20
	ds_write2_b64 v38, v[4:5], v[29:30] offset1:5
	ds_write2_b64 v38, v[31:32], v[33:34] offset0:10 offset1:15
	ds_write2_b64 v38, v[17:18], v[10:11] offset0:20 offset1:25
	ds_write_b64 v38, v[14:15] offset:240
	v_add_f64 v[19:20], v[2:3], -v[23:24]
	v_add_f64 v[21:22], v[6:7], -v[0:1]
	v_add_f64 v[25:26], v[27:28], v[12:13]
	v_add_f64 v[27:28], v[12:13], -v[27:28]
	v_add_f64 v[35:36], v[0:1], v[6:7]
	v_add_f64 v[23:24], v[23:24], v[2:3]
	v_lshlrev_b32_e32 v37, 4, v37
	s_waitcnt lgkmcnt(0)
	s_barrier
	buffer_gl0_inv
	ds_read2_b64 v[0:3], v16 offset1:245
	ds_read2_b64 v[4:7], v8 offset0:10 offset1:255
	ds_read2_b64 v[10:13], v9 offset0:4 offset1:249
	ds_read_b64 v[14:15], v16 offset:11760
	s_waitcnt lgkmcnt(0)
	s_barrier
	buffer_gl0_inv
	ds_write2_b64 v38, v[54:55], v[19:20] offset1:5
	ds_write2_b64 v38, v[21:22], v[25:26] offset0:10 offset1:15
	ds_write2_b64 v38, v[27:28], v[35:36] offset0:20 offset1:25
	ds_write_b64 v38, v[23:24] offset:240
	s_waitcnt lgkmcnt(0)
	s_barrier
	buffer_gl0_inv
	s_clause 0x5
	global_load_dwordx4 v[17:20], v37, s[8:9] offset:480
	global_load_dwordx4 v[21:24], v37, s[8:9] offset:496
	;; [unrolled: 1-line block ×6, first 2 shown]
	ds_read2_b64 v[48:51], v16 offset1:245
	ds_read2_b64 v[52:55], v8 offset0:10 offset1:255
	ds_read_b64 v[37:38], v16 offset:11760
	ds_read2_b64 v[56:59], v9 offset0:4 offset1:249
	s_waitcnt vmcnt(0) lgkmcnt(0)
	s_barrier
	buffer_gl0_inv
	v_mul_f64 v[60:61], v[50:51], v[19:20]
	v_mul_f64 v[19:20], v[2:3], v[19:20]
	;; [unrolled: 1-line block ×9, first 2 shown]
	v_fma_f64 v[2:3], v[2:3], v[17:18], v[60:61]
	v_fma_f64 v[17:18], v[50:51], v[17:18], -v[19:20]
	v_mul_f64 v[19:20], v[12:13], v[31:32]
	v_fma_f64 v[4:5], v[4:5], v[21:22], v[62:63]
	v_fma_f64 v[21:22], v[52:53], v[21:22], -v[23:24]
	v_mul_f64 v[23:24], v[56:57], v[46:47]
	v_mul_f64 v[31:32], v[10:11], v[46:47]
	v_fma_f64 v[14:15], v[14:15], v[25:26], v[64:65]
	v_fma_f64 v[12:13], v[12:13], v[29:30], v[66:67]
	v_fma_f64 v[6:7], v[6:7], v[33:34], v[68:69]
	v_fma_f64 v[25:26], v[37:38], v[25:26], -v[27:28]
	v_fma_f64 v[27:28], v[54:55], v[33:34], -v[35:36]
	;; [unrolled: 1-line block ×3, first 2 shown]
	v_fma_f64 v[10:11], v[10:11], v[44:45], v[23:24]
	v_fma_f64 v[23:24], v[56:57], v[44:45], -v[31:32]
	v_add_f64 v[29:30], v[2:3], v[14:15]
	v_add_f64 v[31:32], v[4:5], v[12:13]
	v_add_f64 v[4:5], v[4:5], -v[12:13]
	v_add_f64 v[33:34], v[17:18], v[25:26]
	v_add_f64 v[17:18], v[17:18], -v[25:26]
	v_add_f64 v[2:3], v[2:3], -v[14:15]
	v_add_f64 v[35:36], v[21:22], v[19:20]
	v_add_f64 v[19:20], v[21:22], -v[19:20]
	v_add_f64 v[21:22], v[6:7], v[10:11]
	;; [unrolled: 2-line block ×3, first 2 shown]
	v_add_f64 v[25:26], v[31:32], v[29:30]
	v_add_f64 v[6:7], v[10:11], -v[6:7]
	v_add_f64 v[52:53], v[4:5], -v[2:3]
	v_add_f64 v[10:11], v[35:36], v[33:34]
	v_add_f64 v[27:28], v[19:20], -v[17:18]
	v_add_f64 v[12:13], v[29:30], -v[21:22]
	;; [unrolled: 1-line block ×4, first 2 shown]
	v_add_f64 v[25:26], v[21:22], v[25:26]
	v_add_f64 v[21:22], v[21:22], -v[31:32]
	v_add_f64 v[46:47], v[23:24], -v[35:36]
	v_add_f64 v[19:20], v[37:38], v[19:20]
	v_add_f64 v[50:51], v[6:7], -v[4:5]
	v_add_f64 v[37:38], v[17:18], -v[37:38]
	;; [unrolled: 1-line block ×4, first 2 shown]
	v_add_f64 v[4:5], v[6:7], v[4:5]
	v_add_f64 v[6:7], v[2:3], -v[6:7]
	v_add_f64 v[10:11], v[23:24], v[10:11]
	v_mul_f64 v[23:24], v[27:28], s[4:5]
	v_mul_f64 v[12:13], v[12:13], s[6:7]
	;; [unrolled: 1-line block ×4, first 2 shown]
	v_add_f64 v[0:1], v[0:1], v[25:26]
	v_mul_f64 v[31:32], v[21:22], s[0:1]
	v_mul_f64 v[44:45], v[46:47], s[0:1]
	v_add_f64 v[17:18], v[19:20], v[17:18]
	v_mul_f64 v[19:20], v[50:51], s[14:15]
	v_mul_f64 v[50:51], v[52:53], s[4:5]
	v_add_f64 v[2:3], v[4:5], v[2:3]
	v_add_f64 v[48:49], v[48:49], v[10:11]
	v_fma_f64 v[23:24], v[37:38], s[22:23], -v[23:24]
	v_fma_f64 v[21:22], v[21:22], s[0:1], v[12:13]
	v_fma_f64 v[54:55], v[37:38], s[20:21], v[14:15]
	v_fma_f64 v[14:15], v[27:28], s[4:5], -v[14:15]
	v_fma_f64 v[25:26], v[25:26], s[10:11], v[0:1]
	v_fma_f64 v[12:13], v[29:30], s[18:19], -v[12:13]
	v_fma_f64 v[27:28], v[29:30], s[16:17], -v[31:32]
	v_fma_f64 v[4:5], v[46:47], s[0:1], v[35:36]
	v_fma_f64 v[29:30], v[33:34], s[16:17], -v[44:45]
	;; [unrolled: 3-line block ×3, first 2 shown]
	v_fma_f64 v[6:7], v[6:7], s[22:23], -v[50:51]
	v_fma_f64 v[10:11], v[10:11], s[10:11], v[48:49]
	v_fma_f64 v[35:36], v[17:18], s[24:25], v[54:55]
	;; [unrolled: 1-line block ×3, first 2 shown]
	v_add_f64 v[21:22], v[21:22], v[25:26]
	v_fma_f64 v[17:18], v[17:18], s[24:25], v[23:24]
	v_add_f64 v[12:13], v[12:13], v[25:26]
	v_add_f64 v[23:24], v[27:28], v[25:26]
	v_fma_f64 v[25:26], v[2:3], s[24:25], v[33:34]
	v_fma_f64 v[19:20], v[2:3], s[24:25], v[19:20]
	;; [unrolled: 1-line block ×3, first 2 shown]
	v_mov_b32_e32 v33, 0x7a8
	v_add_f64 v[4:5], v[4:5], v[10:11]
	v_add_f64 v[6:7], v[31:32], v[10:11]
	;; [unrolled: 1-line block ×5, first 2 shown]
	v_add_f64 v[31:32], v[23:24], -v[14:15]
	v_add_f64 v[14:15], v[14:15], v[23:24]
	v_add_f64 v[12:13], v[12:13], -v[17:18]
	v_add_f64 v[17:18], v[21:22], -v[35:36]
	v_mul_u32_u24_sdwa v21, v39, v33 dst_sel:DWORD dst_unused:UNUSED_PAD src0_sel:WORD_0 src1_sel:DWORD
	v_lshlrev_b32_sdwa v22, v70, v71 dst_sel:DWORD dst_unused:UNUSED_PAD src0_sel:DWORD src1_sel:BYTE_0
	v_add3_u32 v37, 0, v21, v22
	ds_write2_b64 v37, v[0:1], v[27:28] offset1:35
	ds_write2_b64 v37, v[29:30], v[31:32] offset0:70 offset1:105
	ds_write2_b64 v37, v[14:15], v[12:13] offset0:140 offset1:175
	ds_write_b64 v37, v[17:18] offset:1680
	v_add_f64 v[21:22], v[4:5], -v[25:26]
	v_add_f64 v[23:24], v[6:7], -v[2:3]
	v_add_f64 v[33:34], v[19:20], v[10:11]
	v_add_f64 v[19:20], v[10:11], -v[19:20]
	v_add_f64 v[35:36], v[2:3], v[6:7]
	v_add_f64 v[25:26], v[25:26], v[4:5]
	s_waitcnt lgkmcnt(0)
	s_barrier
	buffer_gl0_inv
	ds_read2_b64 v[0:3], v16 offset1:245
	ds_read2_b64 v[4:7], v8 offset0:10 offset1:255
	ds_read2_b64 v[8:11], v9 offset0:4 offset1:249
	ds_read_b64 v[12:13], v16 offset:11760
	s_waitcnt lgkmcnt(0)
	s_barrier
	buffer_gl0_inv
	ds_write2_b64 v37, v[48:49], v[21:22] offset1:35
	ds_write2_b64 v37, v[23:24], v[33:34] offset0:70 offset1:105
	ds_write2_b64 v37, v[19:20], v[35:36] offset0:140 offset1:175
	ds_write_b64 v37, v[25:26] offset:1680
	s_waitcnt lgkmcnt(0)
	s_barrier
	buffer_gl0_inv
	s_and_saveexec_b32 s26, vcc_lo
	s_cbranch_execz .LBB0_19
; %bb.18:
	v_mul_u32_u24_e32 v14, 6, v43
	v_add_nc_u32_e32 v37, 0x1e80, v16
	v_add_nc_u32_e32 v38, 0xf00, v16
	v_lshlrev_b32_e32 v14, 4, v14
	v_add_co_u32 v17, s8, s8, v14
	v_add_co_ci_u32_e64 v18, null, s9, 0, s8
	v_add_co_u32 v14, vcc_lo, 0xf00, v17
	v_add_co_ci_u32_e32 v15, vcc_lo, 0, v18, vcc_lo
	v_add_co_u32 v25, vcc_lo, 0x800, v17
	v_add_co_ci_u32_e32 v26, vcc_lo, 0, v18, vcc_lo
	;; [unrolled: 2-line block ×3, first 2 shown]
	s_clause 0x5
	global_load_dwordx4 v[17:20], v[14:15], off offset:16
	global_load_dwordx4 v[21:24], v[25:26], off offset:1856
	;; [unrolled: 1-line block ×6, first 2 shown]
	ds_read2_b64 v[47:50], v16 offset1:245
	ds_read_b64 v[14:15], v16 offset:11760
	ds_read2_b64 v[51:54], v37 offset0:4 offset1:249
	ds_read2_b64 v[55:58], v38 offset0:10 offset1:255
	v_add_co_u32 v72, vcc_lo, s12, v40
	v_add_co_ci_u32_e32 v73, vcc_lo, s13, v41, vcc_lo
	s_waitcnt vmcnt(5)
	v_mul_f64 v[37:38], v[4:5], v[17:18]
	s_waitcnt vmcnt(4)
	v_mul_f64 v[59:60], v[10:11], v[21:22]
	v_mul_f64 v[4:5], v[4:5], v[19:20]
	v_mul_f64 v[10:11], v[10:11], v[23:24]
	s_waitcnt vmcnt(3)
	v_mul_f64 v[61:62], v[2:3], v[27:28]
	s_waitcnt vmcnt(2)
	v_mul_f64 v[63:64], v[12:13], v[31:32]
	v_mul_f64 v[2:3], v[2:3], v[25:26]
	v_mul_f64 v[12:13], v[12:13], v[29:30]
	;; [unrolled: 6-line block ×3, first 2 shown]
	s_waitcnt lgkmcnt(0)
	v_fma_f64 v[19:20], v[55:56], v[19:20], v[37:38]
	v_fma_f64 v[23:24], v[53:54], v[23:24], v[59:60]
	v_fma_f64 v[4:5], v[55:56], v[17:18], -v[4:5]
	v_fma_f64 v[10:11], v[53:54], v[21:22], -v[10:11]
	;; [unrolled: 1-line block ×4, first 2 shown]
	v_fma_f64 v[2:3], v[49:50], v[27:28], v[2:3]
	v_fma_f64 v[12:13], v[14:15], v[31:32], v[12:13]
	;; [unrolled: 1-line block ×4, first 2 shown]
	v_fma_f64 v[6:7], v[57:58], v[43:44], -v[6:7]
	v_fma_f64 v[8:9], v[51:52], v[33:34], -v[8:9]
	v_add_nc_u32_e32 v62, 0x1ea, v42
	v_add_nc_u32_e32 v64, 0x2df, v42
	v_mad_u64_u32 v[35:36], null, s2, v42, 0
	v_add_nc_u32_e32 v55, 0xf5, v42
	v_add_nc_u32_e32 v65, 0x3d4, v42
	v_mad_u64_u32 v[51:52], null, s2, v62, 0
	v_mad_u64_u32 v[53:54], null, s2, v64, 0
	;; [unrolled: 1-line block ×3, first 2 shown]
	v_add_f64 v[31:32], v[19:20], v[23:24]
	v_add_f64 v[27:28], v[4:5], v[10:11]
	v_add_f64 v[18:19], v[19:20], -v[23:24]
	v_add_f64 v[29:30], v[16:17], v[21:22]
	v_add_f64 v[4:5], v[4:5], -v[10:11]
	;; [unrolled: 2-line block ×5, first 2 shown]
	v_add_f64 v[16:17], v[16:17], -v[21:22]
	v_mad_u64_u32 v[23:24], null, s2, v65, 0
	v_mov_b32_e32 v2, v36
	v_mov_b32_e32 v20, v52
	;; [unrolled: 1-line block ×3, first 2 shown]
	v_add_nc_u32_e32 v66, 0x4c9, v42
	v_add_nc_u32_e32 v68, 0x5be, v42
	v_mad_u64_u32 v[41:42], null, s3, v42, v[2:3]
	v_mov_b32_e32 v2, v40
	v_mov_b32_e32 v22, v24
	v_mad_u64_u32 v[62:63], null, s3, v62, v[20:21]
	v_add_f64 v[45:46], v[27:28], v[29:30]
	v_mad_u64_u32 v[12:13], null, s2, v66, 0
	v_add_f64 v[49:50], v[31:32], v[33:34]
	v_add_f64 v[58:59], v[33:34], -v[43:44]
	v_add_f64 v[60:61], v[18:19], -v[10:11]
	;; [unrolled: 1-line block ×3, first 2 shown]
	v_mad_u64_u32 v[63:64], null, s3, v64, v[21:22]
	v_mad_u64_u32 v[21:22], null, s3, v65, v[22:23]
	v_add_f64 v[64:65], v[4:5], -v[16:17]
	v_mad_u64_u32 v[66:67], null, s3, v66, v[13:14]
	v_mov_b32_e32 v36, v41
	v_mov_b32_e32 v52, v62
	;; [unrolled: 1-line block ×3, first 2 shown]
	v_lshlrev_b64 v[35:36], 4, v[35:36]
	v_add_f64 v[8:9], v[37:38], v[45:46]
	v_add_f64 v[37:38], v[37:38], -v[27:28]
	v_mad_u64_u32 v[45:46], null, s2, v68, 0
	v_add_f64 v[25:26], v[43:44], v[49:50]
	v_mad_u64_u32 v[49:50], null, s3, v55, v[2:3]
	v_add_f64 v[54:55], v[14:15], -v[18:19]
	v_add_f64 v[42:43], v[43:44], -v[31:32]
	v_add_f64 v[18:19], v[14:15], v[18:19]
	v_mov_b32_e32 v20, v46
	v_add_f64 v[13:14], v[10:11], -v[14:15]
	v_mul_f64 v[56:57], v[56:57], s[6:7]
	v_mul_f64 v[58:59], v[58:59], s[6:7]
	v_add_f64 v[27:28], v[27:28], -v[29:30]
	v_mad_u64_u32 v[67:68], null, s3, v68, v[20:21]
	v_mul_f64 v[68:69], v[60:61], s[4:5]
	v_mul_f64 v[70:71], v[64:65], s[4:5]
	v_add_f64 v[31:32], v[31:32], -v[33:34]
	v_mov_b32_e32 v40, v49
	v_lshlrev_b64 v[49:50], 4, v[23:24]
	v_add_f64 v[2:3], v[47:48], v[8:9]
	v_add_f64 v[47:48], v[6:7], -v[4:5]
	v_add_f64 v[4:5], v[6:7], v[4:5]
	v_add_f64 v[6:7], v[16:17], -v[6:7]
	v_add_f64 v[0:1], v[0:1], v[25:26]
	v_mul_f64 v[29:30], v[37:38], s[0:1]
	v_lshlrev_b64 v[21:22], 4, v[39:40]
	v_mul_f64 v[54:55], v[54:55], s[14:15]
	v_mul_f64 v[33:34], v[42:43], s[0:1]
	v_add_f64 v[10:11], v[18:19], v[10:11]
	v_add_co_u32 v35, vcc_lo, v72, v35
	v_add_co_ci_u32_e32 v36, vcc_lo, v73, v36, vcc_lo
	v_fma_f64 v[19:20], v[42:43], s[0:1], v[58:59]
	v_fma_f64 v[41:42], v[13:14], s[22:23], -v[68:69]
	v_fma_f64 v[8:9], v[8:9], s[10:11], v[2:3]
	v_mul_f64 v[46:47], v[47:48], s[14:15]
	v_add_f64 v[4:5], v[4:5], v[16:17]
	v_fma_f64 v[17:18], v[37:38], s[0:1], v[56:57]
	v_fma_f64 v[25:26], v[25:26], s[10:11], v[0:1]
	;; [unrolled: 1-line block ×3, first 2 shown]
	v_fma_f64 v[43:44], v[60:61], s[4:5], -v[54:55]
	v_fma_f64 v[55:56], v[27:28], s[18:19], -v[56:57]
	;; [unrolled: 1-line block ×3, first 2 shown]
	v_mov_b32_e32 v54, v63
	v_mov_b32_e32 v13, v66
	v_lshlrev_b64 v[39:40], 4, v[53:54]
	v_fma_f64 v[23:24], v[10:11], s[24:25], v[41:42]
	v_fma_f64 v[37:38], v[6:7], s[20:21], v[46:47]
	v_fma_f64 v[6:7], v[6:7], s[22:23], -v[70:71]
	v_fma_f64 v[29:30], v[64:65], s[4:5], -v[46:47]
	;; [unrolled: 1-line block ×4, first 2 shown]
	v_lshlrev_b64 v[33:34], 4, v[51:52]
	v_fma_f64 v[51:52], v[10:11], s[24:25], v[15:16]
	v_fma_f64 v[41:42], v[10:11], s[24:25], v[43:44]
	v_add_f64 v[16:17], v[17:18], v[8:9]
	v_add_f64 v[43:44], v[19:20], v[25:26]
	;; [unrolled: 1-line block ×4, first 2 shown]
	v_lshlrev_b64 v[55:56], 4, v[12:13]
	v_mov_b32_e32 v46, v67
	v_lshlrev_b64 v[45:46], 4, v[45:46]
	v_fma_f64 v[37:38], v[4:5], s[24:25], v[37:38]
	v_fma_f64 v[57:58], v[4:5], s[24:25], v[6:7]
	v_fma_f64 v[12:13], v[4:5], s[24:25], v[29:30]
	v_add_f64 v[28:29], v[47:48], v[25:26]
	v_add_f64 v[30:31], v[31:32], v[25:26]
	v_add_co_u32 v47, vcc_lo, v72, v21
	v_add_co_ci_u32_e32 v48, vcc_lo, v73, v22, vcc_lo
	v_add_f64 v[26:27], v[16:17], -v[51:52]
	v_add_f64 v[10:11], v[23:24], v[53:54]
	v_add_f64 v[22:23], v[53:54], -v[23:24]
	v_add_f64 v[6:7], v[51:52], v[16:17]
	v_add_f64 v[18:19], v[41:42], v[8:9]
	v_add_f64 v[14:15], v[8:9], -v[41:42]
	v_add_co_u32 v32, vcc_lo, v72, v33
	v_add_co_ci_u32_e32 v33, vcc_lo, v73, v34, vcc_lo
	v_add_f64 v[24:25], v[37:38], v[43:44]
	v_add_f64 v[4:5], v[43:44], -v[37:38]
	v_add_f64 v[20:21], v[57:58], v[28:29]
	v_add_f64 v[16:17], v[30:31], -v[12:13]
	;; [unrolled: 2-line block ×3, first 2 shown]
	v_add_co_u32 v28, vcc_lo, v72, v39
	v_add_co_ci_u32_e32 v29, vcc_lo, v73, v40, vcc_lo
	v_add_co_u32 v30, vcc_lo, v72, v49
	v_add_co_ci_u32_e32 v31, vcc_lo, v73, v50, vcc_lo
	;; [unrolled: 2-line block ×4, first 2 shown]
	global_store_dwordx4 v[35:36], v[0:3], off
	global_store_dwordx4 v[47:48], v[24:27], off
	;; [unrolled: 1-line block ×7, first 2 shown]
.LBB0_19:
	s_endpgm
	.section	.rodata,"a",@progbits
	.p2align	6, 0x0
	.amdhsa_kernel fft_rtc_back_len1715_factors_5_7_7_7_wgs_245_tpt_245_halfLds_dp_ip_CI_sbrr_dirReg
		.amdhsa_group_segment_fixed_size 0
		.amdhsa_private_segment_fixed_size 0
		.amdhsa_kernarg_size 88
		.amdhsa_user_sgpr_count 6
		.amdhsa_user_sgpr_private_segment_buffer 1
		.amdhsa_user_sgpr_dispatch_ptr 0
		.amdhsa_user_sgpr_queue_ptr 0
		.amdhsa_user_sgpr_kernarg_segment_ptr 1
		.amdhsa_user_sgpr_dispatch_id 0
		.amdhsa_user_sgpr_flat_scratch_init 0
		.amdhsa_user_sgpr_private_segment_size 0
		.amdhsa_wavefront_size32 1
		.amdhsa_uses_dynamic_stack 0
		.amdhsa_system_sgpr_private_segment_wavefront_offset 0
		.amdhsa_system_sgpr_workgroup_id_x 1
		.amdhsa_system_sgpr_workgroup_id_y 0
		.amdhsa_system_sgpr_workgroup_id_z 0
		.amdhsa_system_sgpr_workgroup_info 0
		.amdhsa_system_vgpr_workitem_id 0
		.amdhsa_next_free_vgpr 76
		.amdhsa_next_free_sgpr 27
		.amdhsa_reserve_vcc 1
		.amdhsa_reserve_flat_scratch 0
		.amdhsa_float_round_mode_32 0
		.amdhsa_float_round_mode_16_64 0
		.amdhsa_float_denorm_mode_32 3
		.amdhsa_float_denorm_mode_16_64 3
		.amdhsa_dx10_clamp 1
		.amdhsa_ieee_mode 1
		.amdhsa_fp16_overflow 0
		.amdhsa_workgroup_processor_mode 1
		.amdhsa_memory_ordered 1
		.amdhsa_forward_progress 0
		.amdhsa_shared_vgpr_count 0
		.amdhsa_exception_fp_ieee_invalid_op 0
		.amdhsa_exception_fp_denorm_src 0
		.amdhsa_exception_fp_ieee_div_zero 0
		.amdhsa_exception_fp_ieee_overflow 0
		.amdhsa_exception_fp_ieee_underflow 0
		.amdhsa_exception_fp_ieee_inexact 0
		.amdhsa_exception_int_div_zero 0
	.end_amdhsa_kernel
	.text
.Lfunc_end0:
	.size	fft_rtc_back_len1715_factors_5_7_7_7_wgs_245_tpt_245_halfLds_dp_ip_CI_sbrr_dirReg, .Lfunc_end0-fft_rtc_back_len1715_factors_5_7_7_7_wgs_245_tpt_245_halfLds_dp_ip_CI_sbrr_dirReg
                                        ; -- End function
	.section	.AMDGPU.csdata,"",@progbits
; Kernel info:
; codeLenInByte = 7104
; NumSgprs: 29
; NumVgprs: 76
; ScratchSize: 0
; MemoryBound: 1
; FloatMode: 240
; IeeeMode: 1
; LDSByteSize: 0 bytes/workgroup (compile time only)
; SGPRBlocks: 3
; VGPRBlocks: 9
; NumSGPRsForWavesPerEU: 29
; NumVGPRsForWavesPerEU: 76
; Occupancy: 12
; WaveLimiterHint : 1
; COMPUTE_PGM_RSRC2:SCRATCH_EN: 0
; COMPUTE_PGM_RSRC2:USER_SGPR: 6
; COMPUTE_PGM_RSRC2:TRAP_HANDLER: 0
; COMPUTE_PGM_RSRC2:TGID_X_EN: 1
; COMPUTE_PGM_RSRC2:TGID_Y_EN: 0
; COMPUTE_PGM_RSRC2:TGID_Z_EN: 0
; COMPUTE_PGM_RSRC2:TIDIG_COMP_CNT: 0
	.text
	.p2alignl 6, 3214868480
	.fill 48, 4, 3214868480
	.type	__hip_cuid_a52bfb72a1f30fa8,@object ; @__hip_cuid_a52bfb72a1f30fa8
	.section	.bss,"aw",@nobits
	.globl	__hip_cuid_a52bfb72a1f30fa8
__hip_cuid_a52bfb72a1f30fa8:
	.byte	0                               ; 0x0
	.size	__hip_cuid_a52bfb72a1f30fa8, 1

	.ident	"AMD clang version 19.0.0git (https://github.com/RadeonOpenCompute/llvm-project roc-6.4.0 25133 c7fe45cf4b819c5991fe208aaa96edf142730f1d)"
	.section	".note.GNU-stack","",@progbits
	.addrsig
	.addrsig_sym __hip_cuid_a52bfb72a1f30fa8
	.amdgpu_metadata
---
amdhsa.kernels:
  - .args:
      - .actual_access:  read_only
        .address_space:  global
        .offset:         0
        .size:           8
        .value_kind:     global_buffer
      - .offset:         8
        .size:           8
        .value_kind:     by_value
      - .actual_access:  read_only
        .address_space:  global
        .offset:         16
        .size:           8
        .value_kind:     global_buffer
      - .actual_access:  read_only
        .address_space:  global
        .offset:         24
        .size:           8
        .value_kind:     global_buffer
      - .offset:         32
        .size:           8
        .value_kind:     by_value
      - .actual_access:  read_only
        .address_space:  global
        .offset:         40
        .size:           8
        .value_kind:     global_buffer
      - .actual_access:  read_only
        .address_space:  global
        .offset:         48
        .size:           8
        .value_kind:     global_buffer
      - .offset:         56
        .size:           4
        .value_kind:     by_value
      - .actual_access:  read_only
        .address_space:  global
        .offset:         64
        .size:           8
        .value_kind:     global_buffer
      - .actual_access:  read_only
        .address_space:  global
        .offset:         72
        .size:           8
        .value_kind:     global_buffer
      - .address_space:  global
        .offset:         80
        .size:           8
        .value_kind:     global_buffer
    .group_segment_fixed_size: 0
    .kernarg_segment_align: 8
    .kernarg_segment_size: 88
    .language:       OpenCL C
    .language_version:
      - 2
      - 0
    .max_flat_workgroup_size: 245
    .name:           fft_rtc_back_len1715_factors_5_7_7_7_wgs_245_tpt_245_halfLds_dp_ip_CI_sbrr_dirReg
    .private_segment_fixed_size: 0
    .sgpr_count:     29
    .sgpr_spill_count: 0
    .symbol:         fft_rtc_back_len1715_factors_5_7_7_7_wgs_245_tpt_245_halfLds_dp_ip_CI_sbrr_dirReg.kd
    .uniform_work_group_size: 1
    .uses_dynamic_stack: false
    .vgpr_count:     76
    .vgpr_spill_count: 0
    .wavefront_size: 32
    .workgroup_processor_mode: 1
amdhsa.target:   amdgcn-amd-amdhsa--gfx1030
amdhsa.version:
  - 1
  - 2
...

	.end_amdgpu_metadata
